;; amdgpu-corpus repo=ROCm/rocFFT kind=compiled arch=gfx950 opt=O3
	.text
	.amdgcn_target "amdgcn-amd-amdhsa--gfx950"
	.amdhsa_code_object_version 6
	.protected	fft_rtc_back_len800_factors_16_5_10_wgs_160_tpt_160_halfLds_sp_op_CI_CI_unitstride_sbrr_dirReg ; -- Begin function fft_rtc_back_len800_factors_16_5_10_wgs_160_tpt_160_halfLds_sp_op_CI_CI_unitstride_sbrr_dirReg
	.globl	fft_rtc_back_len800_factors_16_5_10_wgs_160_tpt_160_halfLds_sp_op_CI_CI_unitstride_sbrr_dirReg
	.p2align	8
	.type	fft_rtc_back_len800_factors_16_5_10_wgs_160_tpt_160_halfLds_sp_op_CI_CI_unitstride_sbrr_dirReg,@function
fft_rtc_back_len800_factors_16_5_10_wgs_160_tpt_160_halfLds_sp_op_CI_CI_unitstride_sbrr_dirReg: ; @fft_rtc_back_len800_factors_16_5_10_wgs_160_tpt_160_halfLds_sp_op_CI_CI_unitstride_sbrr_dirReg
; %bb.0:
	s_load_dwordx4 s[4:7], s[0:1], 0x58
	s_load_dwordx4 s[8:11], s[0:1], 0x0
	;; [unrolled: 1-line block ×3, first 2 shown]
	v_mul_u32_u24_e32 v1, 0x19a, v0
	v_add_u32_sdwa v10, s2, v1 dst_sel:DWORD dst_unused:UNUSED_PAD src0_sel:DWORD src1_sel:WORD_1
	v_mov_b32_e32 v8, 0
	s_waitcnt lgkmcnt(0)
	v_cmp_lt_u64_e64 s[2:3], s[10:11], 2
	v_mov_b32_e32 v11, v8
	s_and_b64 vcc, exec, s[2:3]
	v_mov_b64_e32 v[6:7], 0
	s_cbranch_vccnz .LBB0_8
; %bb.1:
	s_load_dwordx2 s[2:3], s[0:1], 0x10
	s_add_u32 s16, s14, 8
	s_addc_u32 s17, s15, 0
	s_add_u32 s18, s12, 8
	s_addc_u32 s19, s13, 0
	s_waitcnt lgkmcnt(0)
	s_add_u32 s20, s2, 8
	v_mov_b64_e32 v[6:7], 0
	s_addc_u32 s21, s3, 0
	s_mov_b64 s[22:23], 1
	v_mov_b64_e32 v[2:3], v[6:7]
.LBB0_2:                                ; =>This Inner Loop Header: Depth=1
	s_load_dwordx2 s[24:25], s[20:21], 0x0
                                        ; implicit-def: $vgpr4_vgpr5
	s_waitcnt lgkmcnt(0)
	v_or_b32_e32 v9, s25, v11
	v_cmp_ne_u64_e32 vcc, 0, v[8:9]
	s_and_saveexec_b64 s[2:3], vcc
	s_xor_b64 s[26:27], exec, s[2:3]
	s_cbranch_execz .LBB0_4
; %bb.3:                                ;   in Loop: Header=BB0_2 Depth=1
	v_cvt_f32_u32_e32 v1, s24
	v_cvt_f32_u32_e32 v4, s25
	s_sub_u32 s2, 0, s24
	s_subb_u32 s3, 0, s25
	v_fmac_f32_e32 v1, 0x4f800000, v4
	v_rcp_f32_e32 v1, v1
	s_nop 0
	v_mul_f32_e32 v1, 0x5f7ffffc, v1
	v_mul_f32_e32 v4, 0x2f800000, v1
	v_trunc_f32_e32 v4, v4
	v_fmac_f32_e32 v1, 0xcf800000, v4
	v_cvt_u32_f32_e32 v9, v4
	v_cvt_u32_f32_e32 v1, v1
	v_mul_lo_u32 v4, s2, v9
	v_mul_hi_u32 v12, s2, v1
	v_mul_lo_u32 v5, s3, v1
	v_add_u32_e32 v12, v12, v4
	v_mul_lo_u32 v14, s2, v1
	v_add_u32_e32 v15, v12, v5
	v_mul_hi_u32 v4, v1, v14
	v_mul_hi_u32 v13, v1, v15
	v_mul_lo_u32 v12, v1, v15
	v_mov_b32_e32 v5, v8
	v_lshl_add_u64 v[4:5], v[4:5], 0, v[12:13]
	v_mul_hi_u32 v13, v9, v14
	v_mul_lo_u32 v14, v9, v14
	v_add_co_u32_e32 v4, vcc, v4, v14
	v_mul_hi_u32 v12, v9, v15
	s_nop 0
	v_addc_co_u32_e32 v4, vcc, v5, v13, vcc
	v_mov_b32_e32 v5, v8
	s_nop 0
	v_addc_co_u32_e32 v13, vcc, 0, v12, vcc
	v_mul_lo_u32 v12, v9, v15
	v_lshl_add_u64 v[4:5], v[4:5], 0, v[12:13]
	v_add_co_u32_e32 v1, vcc, v1, v4
	v_mul_lo_u32 v12, s2, v1
	s_nop 0
	v_addc_co_u32_e32 v9, vcc, v9, v5, vcc
	v_mul_lo_u32 v4, s2, v9
	v_mul_hi_u32 v5, s2, v1
	v_add_u32_e32 v4, v5, v4
	v_mul_lo_u32 v5, s3, v1
	v_add_u32_e32 v14, v4, v5
	v_mul_hi_u32 v16, v9, v12
	v_mul_lo_u32 v17, v9, v12
	v_mul_hi_u32 v5, v1, v14
	v_mul_lo_u32 v4, v1, v14
	v_mul_hi_u32 v12, v1, v12
	v_mov_b32_e32 v13, v8
	v_lshl_add_u64 v[4:5], v[12:13], 0, v[4:5]
	v_add_co_u32_e32 v4, vcc, v4, v17
	v_mul_hi_u32 v15, v9, v14
	s_nop 0
	v_addc_co_u32_e32 v4, vcc, v5, v16, vcc
	v_mul_lo_u32 v12, v9, v14
	s_nop 0
	v_addc_co_u32_e32 v13, vcc, 0, v15, vcc
	v_mov_b32_e32 v5, v8
	v_lshl_add_u64 v[4:5], v[4:5], 0, v[12:13]
	v_add_co_u32_e32 v1, vcc, v1, v4
	v_mul_hi_u32 v12, v10, v1
	s_nop 0
	v_addc_co_u32_e32 v9, vcc, v9, v5, vcc
	v_mad_u64_u32 v[4:5], s[2:3], v10, v9, 0
	v_mov_b32_e32 v13, v8
	v_lshl_add_u64 v[4:5], v[12:13], 0, v[4:5]
	v_mad_u64_u32 v[14:15], s[2:3], v11, v1, 0
	v_add_co_u32_e32 v1, vcc, v4, v14
	v_mad_u64_u32 v[12:13], s[2:3], v11, v9, 0
	s_nop 0
	v_addc_co_u32_e32 v4, vcc, v5, v15, vcc
	v_mov_b32_e32 v5, v8
	s_nop 0
	v_addc_co_u32_e32 v13, vcc, 0, v13, vcc
	v_lshl_add_u64 v[4:5], v[4:5], 0, v[12:13]
	v_mul_lo_u32 v1, s25, v4
	v_mul_lo_u32 v9, s24, v5
	v_mad_u64_u32 v[12:13], s[2:3], s24, v4, 0
	v_add3_u32 v1, v13, v9, v1
	v_sub_u32_e32 v9, v11, v1
	v_mov_b32_e32 v13, s25
	v_sub_co_u32_e32 v16, vcc, v10, v12
	v_lshl_add_u64 v[14:15], v[4:5], 0, 1
	s_nop 0
	v_subb_co_u32_e64 v9, s[2:3], v9, v13, vcc
	v_subrev_co_u32_e64 v12, s[2:3], s24, v16
	v_subb_co_u32_e32 v1, vcc, v11, v1, vcc
	s_nop 0
	v_subbrev_co_u32_e64 v9, s[2:3], 0, v9, s[2:3]
	v_cmp_le_u32_e64 s[2:3], s25, v9
	v_cmp_le_u32_e32 vcc, s25, v1
	s_nop 0
	v_cndmask_b32_e64 v13, 0, -1, s[2:3]
	v_cmp_le_u32_e64 s[2:3], s24, v12
	s_nop 1
	v_cndmask_b32_e64 v12, 0, -1, s[2:3]
	v_cmp_eq_u32_e64 s[2:3], s25, v9
	s_nop 1
	v_cndmask_b32_e64 v9, v13, v12, s[2:3]
	v_lshl_add_u64 v[12:13], v[4:5], 0, 2
	v_cmp_ne_u32_e64 s[2:3], 0, v9
	s_nop 1
	v_cndmask_b32_e64 v9, v15, v13, s[2:3]
	v_cndmask_b32_e64 v13, 0, -1, vcc
	v_cmp_le_u32_e32 vcc, s24, v16
	s_nop 1
	v_cndmask_b32_e64 v15, 0, -1, vcc
	v_cmp_eq_u32_e32 vcc, s25, v1
	s_nop 1
	v_cndmask_b32_e32 v1, v13, v15, vcc
	v_cmp_ne_u32_e32 vcc, 0, v1
	v_cndmask_b32_e64 v1, v14, v12, s[2:3]
	s_nop 0
	v_cndmask_b32_e32 v5, v5, v9, vcc
	v_cndmask_b32_e32 v4, v4, v1, vcc
.LBB0_4:                                ;   in Loop: Header=BB0_2 Depth=1
	s_andn2_saveexec_b64 s[2:3], s[26:27]
	s_cbranch_execz .LBB0_6
; %bb.5:                                ;   in Loop: Header=BB0_2 Depth=1
	v_cvt_f32_u32_e32 v1, s24
	s_sub_i32 s26, 0, s24
	v_rcp_iflag_f32_e32 v1, v1
	s_nop 0
	v_mul_f32_e32 v1, 0x4f7ffffe, v1
	v_cvt_u32_f32_e32 v1, v1
	v_mul_lo_u32 v4, s26, v1
	v_mul_hi_u32 v4, v1, v4
	v_add_u32_e32 v1, v1, v4
	v_mul_hi_u32 v1, v10, v1
	v_mul_lo_u32 v4, v1, s24
	v_sub_u32_e32 v4, v10, v4
	v_add_u32_e32 v5, 1, v1
	v_subrev_u32_e32 v9, s24, v4
	v_cmp_le_u32_e32 vcc, s24, v4
	s_nop 1
	v_cndmask_b32_e32 v4, v4, v9, vcc
	v_cndmask_b32_e32 v1, v1, v5, vcc
	v_add_u32_e32 v5, 1, v1
	v_cmp_le_u32_e32 vcc, s24, v4
	s_nop 1
	v_cndmask_b32_e32 v4, v1, v5, vcc
	v_mov_b32_e32 v5, v8
.LBB0_6:                                ;   in Loop: Header=BB0_2 Depth=1
	s_or_b64 exec, exec, s[2:3]
	v_mad_u64_u32 v[12:13], s[2:3], v4, s24, 0
	s_load_dwordx2 s[2:3], s[18:19], 0x0
	v_mul_lo_u32 v1, v5, s24
	v_mul_lo_u32 v9, v4, s25
	s_load_dwordx2 s[24:25], s[16:17], 0x0
	s_add_u32 s22, s22, 1
	v_add3_u32 v1, v13, v9, v1
	v_sub_co_u32_e32 v9, vcc, v10, v12
	s_addc_u32 s23, s23, 0
	s_nop 0
	v_subb_co_u32_e32 v1, vcc, v11, v1, vcc
	s_add_u32 s16, s16, 8
	s_waitcnt lgkmcnt(0)
	v_mul_lo_u32 v10, s2, v1
	v_mul_lo_u32 v11, s3, v9
	v_mad_u64_u32 v[6:7], s[2:3], s2, v9, v[6:7]
	s_addc_u32 s17, s17, 0
	v_add3_u32 v7, v11, v7, v10
	v_mul_lo_u32 v1, s24, v1
	v_mul_lo_u32 v10, s25, v9
	v_mad_u64_u32 v[2:3], s[2:3], s24, v9, v[2:3]
	s_add_u32 s18, s18, 8
	v_add3_u32 v3, v10, v3, v1
	s_addc_u32 s19, s19, 0
	v_mov_b64_e32 v[10:11], s[10:11]
	s_add_u32 s20, s20, 8
	v_cmp_ge_u64_e32 vcc, s[22:23], v[10:11]
	s_addc_u32 s21, s21, 0
	s_cbranch_vccnz .LBB0_9
; %bb.7:                                ;   in Loop: Header=BB0_2 Depth=1
	v_mov_b64_e32 v[10:11], v[4:5]
	s_branch .LBB0_2
.LBB0_8:
	v_mov_b64_e32 v[2:3], v[6:7]
	v_mov_b64_e32 v[4:5], v[10:11]
.LBB0_9:
	s_load_dwordx2 s[0:1], s[0:1], 0x28
	s_mov_b32 s16, 0x199999a
	v_mul_hi_u32 v1, v0, s16
	v_mul_u32_u24_e32 v1, 0xa0, v1
	s_lshl_b64 s[2:3], s[10:11], 3
	v_sub_u32_e32 v0, v0, v1
	s_add_u32 s10, s14, s2
	s_waitcnt lgkmcnt(0)
	v_cmp_gt_u64_e32 vcc, s[0:1], v[4:5]
	v_cmp_gt_u32_e64 s[0:1], 50, v0
	v_mov_b32_e32 v16, 0
	s_addc_u32 s11, s15, s3
	s_and_b64 s[16:17], vcc, s[0:1]
	v_mov_b32_e32 v34, 0
	v_mov_b32_e32 v22, 0
	;; [unrolled: 1-line block ×15, first 2 shown]
                                        ; implicit-def: $vgpr15
                                        ; implicit-def: $vgpr26
                                        ; implicit-def: $vgpr42
                                        ; implicit-def: $vgpr36
                                        ; implicit-def: $vgpr44
                                        ; implicit-def: $vgpr18
                                        ; implicit-def: $vgpr38
                                        ; implicit-def: $vgpr20
                                        ; implicit-def: $vgpr30
	s_and_saveexec_b64 s[14:15], s[16:17]
	s_cbranch_execz .LBB0_11
; %bb.10:
	s_add_u32 s2, s12, s2
	s_addc_u32 s3, s13, s3
	s_load_dwordx2 s[2:3], s[2:3], 0x0
	v_mov_b32_e32 v1, 0
	s_waitcnt lgkmcnt(0)
	v_mul_lo_u32 v10, s3, v4
	v_mul_lo_u32 v11, s2, v5
	v_mad_u64_u32 v[8:9], s[2:3], s2, v4, 0
	v_add3_u32 v9, v9, v11, v10
	v_lshl_add_u64 v[8:9], v[8:9], 3, s[4:5]
	v_lshl_add_u64 v[6:7], v[6:7], 3, v[8:9]
	;; [unrolled: 1-line block ×3, first 2 shown]
	global_load_dwordx2 v[12:13], v[6:7], off offset:1600
	global_load_dwordx2 v[24:25], v[6:7], off offset:2000
	;; [unrolled: 1-line block ×4, first 2 shown]
	global_load_dwordx2 v[8:9], v[6:7], off
	global_load_dwordx2 v[28:29], v[6:7], off offset:400
	global_load_dwordx2 v[42:43], v[6:7], off offset:800
	;; [unrolled: 1-line block ×3, first 2 shown]
	s_movk_i32 s2, 0x1000
	v_add_co_u32_e64 v16, s[2:3], s2, v6
	s_waitcnt vmcnt(2)
	v_mov_b32_e32 v34, v29
	v_addc_co_u32_e64 v17, s[2:3], 0, v7, s[2:3]
	global_load_dwordx2 v[14:15], v[6:7], off offset:4000
	global_load_dwordx2 v[36:37], v[16:17], off offset:304
	;; [unrolled: 1-line block ×8, first 2 shown]
	v_mov_b32_e32 v16, v9
	v_mov_b32_e32 v29, v40
	s_waitcnt vmcnt(8)
	v_mov_b32_e32 v32, v11
	v_mov_b32_e32 v33, v28
	;; [unrolled: 1-line block ×7, first 2 shown]
	s_waitcnt vmcnt(6)
	v_mov_b32_e32 v42, v37
	s_waitcnt vmcnt(5)
	v_mov_b32_e32 v43, v31
	v_mov_b32_e32 v37, v14
	s_waitcnt vmcnt(3)
	v_mov_b32_e32 v44, v47
	v_mov_b32_e32 v45, v27
	;; [unrolled: 1-line block ×3, first 2 shown]
.LBB0_11:
	s_or_b64 exec, exec, s[14:15]
	v_mov_b32_e32 v14, 2.0
	v_pk_add_f32 v[46:47], v[8:9], v[14:15] neg_lo:[0,1] neg_hi:[0,1]
	v_pk_add_f32 v[6:7], v[8:9], v[8:9]
	s_waitcnt vmcnt(0)
	v_pk_add_f32 v[20:21], v[12:13], v[20:21] neg_lo:[0,1] neg_hi:[0,1]
	v_pk_add_f32 v[36:37], v[10:11], v[36:37] neg_lo:[0,1] neg_hi:[0,1]
	v_fma_f32 v1, v9, 2.0, -v47
	v_sub_f32_e32 v9, v22, v26
	v_mov_b32_e32 v15, v38
	v_fma_f32 v48, v12, 2.0, -v20
	v_fma_f32 v11, v11, 2.0, -v37
	;; [unrolled: 1-line block ×3, first 2 shown]
	v_pk_add_f32 v[22:23], v[32:33], v[14:15] neg_lo:[0,1] neg_hi:[0,1]
	v_mov_b32_e32 v24, v32
	v_mov_b32_e32 v15, v39
	v_pk_add_f32 v[38:39], v[24:25], v[42:43] neg_lo:[0,1] neg_hi:[0,1]
	v_sub_f32_e32 v22, v11, v12
	v_pk_add_f32 v[50:51], v[32:33], v[32:33]
	v_pk_add_f32 v[26:27], v[34:35], v[14:15] op_sel_hi:[0,1] neg_lo:[0,1] neg_hi:[0,1]
	v_pk_mul_f32 v[34:35], v[34:35], v[14:15]
	v_fma_f32 v32, v25, 2.0, -v39
	v_fma_f32 v15, v11, 2.0, -v22
	v_mov_b32_e32 v24, v33
	v_mov_b32_e32 v25, v10
	;; [unrolled: 1-line block ×4, first 2 shown]
	v_pk_add_f32 v[30:31], v[28:29], v[30:31] neg_lo:[0,1] neg_hi:[0,1]
	v_pk_fma_f32 v[10:11], v[24:25], 2.0, v[10:11] op_sel_hi:[1,0,1] neg_lo:[0,0,1] neg_hi:[0,0,1]
	v_pk_fma_f32 v[24:25], v[28:29], 2.0, v[30:31] op_sel_hi:[1,0,1] neg_lo:[0,0,1] neg_hi:[0,0,1]
	v_mov_b32_e32 v12, v31
	v_pk_add_f32 v[58:59], v[10:11], v[24:25] neg_lo:[0,1] neg_hi:[0,1]
	v_pk_add_f32 v[28:29], v[38:39], v[12:13] neg_lo:[0,1] neg_hi:[0,1]
	v_pk_fma_f32 v[10:11], v[10:11], 2.0, v[58:59] op_sel_hi:[1,0,1] neg_lo:[0,0,1] neg_hi:[0,0,1]
	v_mov_b32_e32 v35, v27
	v_mov_b32_e32 v12, v11
	v_pk_add_f32 v[24:25], v[10:11], v[12:13] neg_lo:[0,1] neg_hi:[0,1]
	v_mov_b32_e32 v11, v30
	v_fma_f32 v25, v10, 2.0, -v24
	v_mov_b32_e32 v10, v27
	v_pk_add_f32 v[44:45], v[40:41], v[44:45] neg_lo:[0,1] neg_hi:[0,1]
	v_mul_f32_e32 v33, 0x3f3504f3, v28
	v_pk_add_f32 v[10:11], v[34:35], v[10:11] neg_lo:[0,1] neg_hi:[0,1]
	v_mov_b32_e32 v51, v23
	v_pk_add_f32 v[30:31], v[10:11], v[32:33]
	v_pk_add_f32 v[64:65], v[10:11], v[32:33] neg_lo:[0,1] neg_hi:[0,1]
	v_pk_add_f32 v[34:35], v[36:37], v[44:45]
	v_fma_f32 v17, v41, 2.0, -v45
	v_fma_f32 v40, v40, 2.0, -v44
	v_add_f32_e32 v42, v38, v38
	s_mov_b32 s4, 0x3f3504f3
	v_mov_b32_e32 v65, v31
	v_pk_add_f32 v[30:31], v[50:51], v[38:39] neg_lo:[0,1] neg_hi:[0,1]
	v_mov_b32_e32 v43, v8
	v_mov_b32_e32 v29, v18
	v_mul_f32_e32 v41, 0x3f3504f3, v34
	s_mov_b32 s5, 0x3ec3ef15
	v_pk_add_f32 v[54:55], v[50:51], v[38:39]
	v_pk_add_f32 v[38:39], v[42:43], v[28:29] neg_lo:[0,1] neg_hi:[0,1]
	v_pk_fma_f32 v[56:57], v[36:37], 2.0, v[34:35] op_sel_hi:[1,0,1] neg_lo:[0,0,1] neg_hi:[0,0,1]
	v_mov_b32_e32 v44, 0x3f3504f3
	v_mov_b32_e32 v45, v21
	v_pk_add_f32 v[52:53], v[30:31], v[40:41] neg_lo:[0,1] neg_hi:[0,1]
	v_fma_f32 v12, v10, 2.0, -v64
	v_fma_f32 v10, v23, 2.0, -v55
	v_pk_mul_f32 v[50:51], v[38:39], v[44:45]
	v_pk_add_f32 v[36:37], v[38:39], v[20:21]
	v_pk_mul_f32 v[28:29], v[56:57], s[4:5] op_sel_hi:[1,0]
	v_fma_f32 v8, v30, 2.0, -v52
	v_sub_f32_e32 v26, v1, v17
	v_mul_f32_e32 v23, 0x3f3504f3, v35
	v_mov_b32_e32 v51, v37
	v_fmac_f32_e32 v37, 0x3f3504f3, v35
	v_pk_add_f32 v[34:35], v[54:55], v[40:41]
	v_sub_f32_e32 v17, v12, v8
	v_sub_f32_e32 v8, v10, v28
	v_mov_b32_e32 v7, v47
	v_mov_b32_e32 v53, v35
	v_add_f32_e32 v35, v50, v8
	v_mov_b32_e32 v8, v39
	s_mov_b32 s2, 2.0
	v_pk_add_f32 v[8:9], v[6:7], v[8:9] neg_lo:[0,1] neg_hi:[0,1]
	s_mov_b32 s3, s4
	v_mov_b32_e32 v49, v44
	v_add_f32_e32 v43, v39, v39
	v_pk_add_f32 v[38:39], v[8:9], v[48:49] neg_lo:[0,1] neg_hi:[0,1]
	v_pk_mul_f32 v[6:7], v[8:9], s[2:3]
	v_mov_b32_e32 v46, v27
	v_fma_f32 v6, v8, 2.0, -v38
	v_mov_b32_e32 v8, v11
	v_pk_fma_f32 v[8:9], v[46:47], 2.0, v[8:9] op_sel_hi:[1,0,1] neg_lo:[0,0,1] neg_hi:[0,0,1]
	s_mov_b32 s13, 0x3f6c835e
	v_mov_b32_e32 v42, v8
	v_pk_add_f32 v[46:47], v[42:43], v[50:51] neg_lo:[0,1] neg_hi:[0,1]
	v_pk_mul_f32 v[44:45], v[8:9], s[2:3]
	v_pk_fma_f32 v[42:43], v[56:57], s[4:5], v[46:47] op_sel_hi:[1,0,1] neg_lo:[1,0,0] neg_hi:[1,0,0]
	v_mov_b32_e32 v34, v47
	v_pk_fma_f32 v[48:49], v[8:9], s[2:3], v[42:43] neg_lo:[0,0,1] neg_hi:[0,0,1]
	v_pk_fma_f32 v[8:9], v[8:9], s[2:3], v[42:43]
	s_mov_b32 s3, s5
	v_mov_b32_e32 v32, v58
	v_fma_f32 v36, v10, 2.0, -v35
	v_mov_b32_e32 v40, v59
	v_mov_b32_e32 v27, v37
	v_mov_b32_e32 v49, v9
	s_mov_b32 s15, s2
	v_pk_fma_f32 v[60:61], v[34:35], s[2:3], v[8:9] op_sel:[0,0,1] neg_lo:[0,0,1] neg_hi:[0,0,1]
	v_pk_fma_f32 v[8:9], v[34:35], s[2:3], v[8:9] op_sel:[0,0,1]
	v_mov_b32_e32 v37, v42
	s_mov_b32 s2, s13
	v_pk_add_f32 v[62:63], v[32:33], v[52:53]
	v_pk_add_f32 v[40:41], v[64:65], v[40:41] neg_lo:[0,1] neg_hi:[0,1]
	v_mov_b32_e32 v65, v11
	v_pk_fma_f32 v[56:57], v[36:37], s[2:3], v[60:61] op_sel_hi:[1,0,1] neg_lo:[1,0,0] neg_hi:[1,0,0]
	v_pk_fma_f32 v[10:11], v[36:37], s[2:3], v[8:9] op_sel_hi:[1,0,1]
	v_pk_mul_f32 v[30:31], v[62:63], s[4:5]
	s_mov_b32 s12, s4
	v_mov_b32_e32 v39, v7
	s_mov_b32 s14, s5
	v_mov_b32_e32 v57, v11
	v_pk_mul_f32 v[32:33], v[40:41], s[12:13]
	v_mul_f32_e32 v67, 0x3f6c835e, v63
	v_pk_add_f32 v[52:53], v[38:39], v[26:27]
	v_pk_fma_f32 v[8:9], v[48:49], s[14:15], v[56:57]
	v_pk_fma_f32 v[10:11], v[48:49], s[14:15], v[10:11] neg_lo:[0,0,1] neg_hi:[0,0,1]
	v_mov_b32_e32 v66, v30
	v_mul_f32_e32 v69, 0x3ec3ef15, v41
	v_sub_f32_e32 v7, v6, v15
	v_mov_b32_e32 v59, v55
	v_mov_b32_e32 v9, v11
	v_pk_add_f32 v[10:11], v[52:53], v[66:67]
	v_mov_b32_e32 v68, v32
	v_fma_f32 v54, v6, 2.0, -v7
	v_pk_fma_f32 v[62:63], v[58:59], 2.0, v[62:63] op_sel_hi:[1,0,1] neg_lo:[0,0,1] neg_hi:[0,0,1]
	v_pk_fma_f32 v[64:65], v[64:65], 2.0, v[40:41] op_sel_hi:[1,0,1] neg_lo:[0,0,1] neg_hi:[0,0,1]
	v_pk_add_f32 v[58:59], v[68:69], v[10:11]
	v_sub_f32_e32 v6, v54, v25
	v_pk_mul_f32 v[40:41], v[64:65], s[4:5]
	v_pk_mul_f32 v[46:47], v[62:63], s[12:13]
	v_pk_fma_f32 v[10:11], v[52:53], 2.0, v[58:59] op_sel_hi:[1,0,1] neg_lo:[0,0,1] neg_hi:[0,0,1]
	s_and_saveexec_b64 s[2:3], s[0:1]
	s_cbranch_execz .LBB0_13
; %bb.12:
	v_mov_b32_e32 v50, v38
	v_mul_f32_e32 v61, 0x3f6c835e, v65
	v_mul_f32_e32 v65, 0x3ec3ef15, v63
	v_pk_fma_f32 v[50:51], v[50:51], 2.0, v[52:53] op_sel_hi:[1,0,1] neg_lo:[0,0,1] neg_hi:[0,0,1]
	v_mov_b32_e32 v64, v46
	v_add_f32_e32 v56, v7, v17
	v_mov_b32_e32 v55, v60
	v_pk_add_f32 v[52:53], v[50:51], v[64:65] neg_lo:[0,1] neg_hi:[0,1]
	v_mov_b32_e32 v60, v40
	v_fma_f32 v62, v7, 2.0, -v56
	v_mov_b32_e32 v7, v8
	v_pk_add_f32 v[52:53], v[60:61], v[52:53]
	v_lshl_add_u32 v15, v0, 6, 0
	v_pk_fma_f32 v[54:55], v[54:55], 2.0, v[6:7] op_sel_hi:[1,0,1] neg_lo:[0,0,1] neg_hi:[0,0,1]
	v_pk_fma_f32 v[50:51], v[50:51], 2.0, v[52:53] op_sel_hi:[1,0,1] neg_lo:[0,0,1] neg_hi:[0,0,1]
	v_mov_b32_e32 v63, v9
	ds_write2_b64 v15, v[54:55], v[50:51] offset1:1
	ds_write2_b64 v15, v[62:63], v[10:11] offset0:2 offset1:3
	ds_write2_b64 v15, v[6:7], v[52:53] offset0:4 offset1:5
	;; [unrolled: 1-line block ×3, first 2 shown]
.LBB0_13:
	s_or_b64 exec, exec, s[2:3]
	v_mov_b32_e32 v15, v19
	v_pk_add_f32 v[18:19], v[16:17], v[14:15] op_sel_hi:[0,1] neg_lo:[0,1] neg_hi:[0,1]
	v_pk_mul_f32 v[14:15], v[16:17], v[14:15]
	v_fma_f32 v28, v1, 2.0, -v26
	v_mov_b32_e32 v15, v19
	v_mov_b32_e32 v26, v19
	;; [unrolled: 1-line block ×3, first 2 shown]
	v_fma_f32 v16, v13, 2.0, -v21
	v_pk_add_f32 v[20:21], v[14:15], v[26:27] neg_lo:[0,1] neg_hi:[0,1]
	v_fma_f32 v12, v12, 2.0, -v17
	v_mov_b32_e32 v17, v39
	v_fma_f32 v15, v19, 2.0, -v21
	v_mul_f32_e32 v25, 0x3f6c835e, v35
	v_pk_add_f32 v[18:19], v[20:21], v[38:39]
	v_pk_add_f32 v[34:35], v[20:21], v[16:17] neg_lo:[0,1] neg_hi:[0,1]
	v_add_f32_e32 v14, v20, v20
	v_mov_b32_e32 v35, v19
	v_pk_add_f32 v[38:39], v[34:35], v[22:23] neg_lo:[0,1] neg_hi:[0,1]
	v_mov_b32_e32 v35, v45
	v_pk_add_f32 v[18:19], v[14:15], v[34:35] neg_lo:[0,1] neg_hi:[0,1]
	v_mul_f32_e32 v13, 0x3ec3ef15, v36
	v_add_f32_e32 v36, v18, v18
	v_pk_add_f32 v[18:19], v[18:19], v[28:29] neg_lo:[0,1] neg_hi:[0,1]
	v_lshl_add_u32 v1, v0, 2, 0
	v_fmamk_f32 v23, v42, 0x3ec3ef15, v19
	v_mov_b32_e32 v22, v18
	v_mul_f32_e32 v17, 0x3f6c835e, v48
	v_pk_add_f32 v[24:25], v[22:23], v[24:25] neg_lo:[0,1] neg_hi:[0,1]
	v_fma_f32 v37, v15, 2.0, -v19
	v_mov_b32_e32 v16, v18
	v_add_u32_e32 v7, 0x400, v1
	v_pk_add_f32 v[28:29], v[36:37], v[16:17] neg_lo:[0,1] neg_hi:[0,1]
	v_pk_fma_f32 v[16:17], v[18:19], 2.0, v[24:25] op_sel_hi:[1,0,1] neg_lo:[0,0,1] neg_hi:[0,0,1]
	s_waitcnt lgkmcnt(0)
	s_barrier
	ds_read2_b32 v[18:19], v1 offset1:160
	ds_read2_b32 v[22:23], v7 offset0:64 offset1:224
	ds_read_b32 v20, v1 offset:2560
	v_pk_add_f32 v[14:15], v[38:39], v[32:33]
	v_pk_add_f32 v[12:13], v[28:29], v[12:13] neg_lo:[0,1] neg_hi:[0,1]
	v_pk_add_f32 v[26:27], v[14:15], v[30:31] neg_lo:[0,1] neg_hi:[0,1]
	s_waitcnt lgkmcnt(0)
	v_pk_fma_f32 v[14:15], v[38:39], 2.0, v[26:27] op_sel_hi:[1,0,1] neg_lo:[0,0,1] neg_hi:[0,0,1]
	s_barrier
	s_and_saveexec_b64 s[2:3], s[0:1]
	s_cbranch_execz .LBB0_15
; %bb.14:
	v_mov_b32_e32 v35, v21
	v_pk_fma_f32 v[30:31], v[34:35], 2.0, v[38:39] op_sel_hi:[1,0,1] neg_lo:[0,0,1] neg_hi:[0,0,1]
	v_mov_b32_e32 v29, v37
	v_pk_add_f32 v[32:33], v[30:31], v[40:41] neg_lo:[0,1] neg_hi:[0,1]
	v_pk_fma_f32 v[28:29], v[28:29], 2.0, v[12:13] op_sel_hi:[1,0,1] neg_lo:[0,0,1] neg_hi:[0,0,1]
	v_pk_add_f32 v[32:33], v[32:33], v[46:47] neg_lo:[0,1] neg_hi:[0,1]
	v_mad_u32_u24 v21, v0, 60, v1
	v_pk_fma_f32 v[30:31], v[30:31], 2.0, v[32:33] op_sel_hi:[1,0,1] neg_lo:[0,0,1] neg_hi:[0,0,1]
	ds_write2_b64 v21, v[28:29], v[30:31] offset1:1
	ds_write2_b64 v21, v[16:17], v[14:15] offset0:2 offset1:3
	ds_write2_b64 v21, v[12:13], v[32:33] offset0:4 offset1:5
	;; [unrolled: 1-line block ×3, first 2 shown]
.LBB0_15:
	s_or_b64 exec, exec, s[2:3]
	v_and_b32_e32 v16, 15, v0
	v_lshlrev_b32_e32 v21, 5, v16
	s_load_dwordx2 s[4:5], s[10:11], 0x0
	s_waitcnt lgkmcnt(0)
	s_barrier
	global_load_dwordx4 v[30:33], v21, s[8:9]
	global_load_dwordx4 v[34:37], v21, s[8:9] offset:16
	ds_read2_b32 v[26:27], v1 offset1:160
	ds_read2_b32 v[24:25], v7 offset0:64 offset1:224
	ds_read_b32 v40, v1 offset:2560
	v_lshrrev_b32_e32 v7, 4, v0
	v_mul_u32_u24_e32 v7, 0x50, v7
	v_or_b32_e32 v7, v7, v16
	v_mov_b32_e32 v44, v19
	v_lshl_add_u32 v16, v7, 2, 0
	s_waitcnt lgkmcnt(1)
	v_mov_b32_e32 v45, v24
	v_mov_b32_e32 v41, v25
	;; [unrolled: 1-line block ×5, first 2 shown]
	s_mov_b32 s0, 0x3e9e377a
	s_mov_b32 s1, 0x3f167918
	;; [unrolled: 1-line block ×4, first 2 shown]
	s_movk_i32 s10, 0x50
	s_waitcnt lgkmcnt(0)
	s_barrier
	s_waitcnt vmcnt(1)
	v_mov_b32_e32 v46, v31
	s_waitcnt vmcnt(0)
	v_mul_f32_e32 v25, v25, v34
	v_mul_f32_e32 v7, v20, v37
	;; [unrolled: 1-line block ×3, first 2 shown]
	v_mov_b32_e32 v31, v33
	v_mov_b32_e32 v51, v34
	v_mov_b32_e32 v34, v37
	v_mov_b32_e32 v47, v32
	v_mov_b32_e32 v50, v36
	v_fma_f32 v29, v40, v36, -v7
	v_fma_f32 v38, v27, v30, -v19
	v_pk_mul_f32 v[30:31], v[44:45], v[30:31]
	v_pk_mul_f32 v[36:37], v[40:41], v[34:35]
	v_mul_f32_e32 v23, v23, v35
	v_pk_fma_f32 v[34:35], v[42:43], v[46:47], v[30:31]
	v_pk_fma_f32 v[20:21], v[20:21], v[50:51], v[36:37]
	v_mul_f32_e32 v49, v22, v33
	v_mul_f32_e32 v33, v24, v32
	v_add_f32_e32 v7, v18, v34
	v_pk_add_f32 v[30:31], v[34:35], v[20:21]
	v_mov_b32_e32 v32, v34
	v_mov_b32_e32 v48, v35
	;; [unrolled: 1-line block ×8, first 2 shown]
	v_add_f32_e32 v51, v7, v35
	v_fma_f32 v7, -0.5, v30, v18
	v_fmac_f32_e32 v18, -0.5, v31
	v_pk_add_f32 v[30:31], v[32:33], v[48:49] neg_lo:[0,1] neg_hi:[0,1]
	v_pk_add_f32 v[32:33], v[24:25], v[22:23] neg_lo:[0,1] neg_hi:[0,1]
	;; [unrolled: 1-line block ×3, first 2 shown]
	v_pk_add_f32 v[36:37], v[30:31], v[32:33]
	v_pk_add_f32 v[24:25], v[30:31], v[32:33] neg_lo:[0,1] neg_hi:[0,1]
	v_sub_f32_e32 v40, v38, v29
	v_mov_b32_e32 v24, v36
	v_add_f32_e32 v19, v22, v23
	v_mov_b32_e32 v41, v25
	v_pk_mul_f32 v[22:23], v[24:25], s[0:1]
	v_mov_b32_e32 v45, v21
	v_fmamk_f32 v44, v40, 0xbf737871, v18
	v_fmac_f32_e32 v18, 0x3f737871, v40
	v_pk_mul_f32 v[24:25], v[40:41], s[2:3]
	v_mov_b32_e32 v50, v23
	v_mul_f32_e32 v28, 0x3e9e377a, v19
	v_add_f32_e32 v23, v23, v18
	v_add_f32_e32 v27, v25, v7
	v_sub_f32_e32 v7, v7, v25
	v_pk_add_f32 v[18:19], v[20:21], v[50:51]
	v_pk_add_f32 v[40:41], v[44:45], v[50:51] neg_lo:[0,1] neg_hi:[0,1]
	v_mov_b32_e32 v47, v20
	v_mov_b32_e32 v46, v22
	v_sub_f32_e32 v42, v27, v24
	v_add_f32_e32 v43, v24, v7
	v_mov_b32_e32 v41, v19
	s_movk_i32 s2, 0x4f
	v_add_f32_e32 v22, v22, v23
	v_pk_add_f32 v[24:25], v[28:29], v[42:43] op_sel_hi:[0,1]
	v_pk_add_f32 v[18:19], v[40:41], v[46:47]
	v_cmp_gt_u32_e64 s[0:1], s10, v0
	v_cmp_lt_u32_e64 s[2:3], s2, v0
	ds_write_b32 v16, v22 offset:256
	ds_write2_b32 v16, v24, v25 offset0:32 offset1:48
	ds_write2_b32 v16, v19, v18 offset1:16
	s_waitcnt lgkmcnt(0)
	s_barrier
	s_and_saveexec_b64 s[10:11], s[2:3]
	s_xor_b64 s[10:11], exec, s[10:11]
	s_andn2_saveexec_b64 s[10:11], s[10:11]
	s_cbranch_execz .LBB0_17
; %bb.16:
	v_add_u32_e32 v8, 0x400, v1
	v_add_u32_e32 v6, 0x800, v1
	ds_read2_b32 v[40:41], v1 offset1:80
	ds_read2_b32 v[6:7], v6 offset0:128 offset1:208
	ds_read2_b32 v[22:23], v8 offset0:64 offset1:144
	;; [unrolled: 1-line block ×3, first 2 shown]
	v_add_u32_e32 v8, 0x600, v1
	ds_read2_b32 v[10:11], v8 offset0:96 offset1:176
	s_waitcnt lgkmcnt(3)
	v_mov_b32_e32 v8, v7
	s_waitcnt lgkmcnt(2)
	v_mov_b32_e32 v9, v23
	v_mov_b32_e32 v18, v41
	;; [unrolled: 1-line block ×3, first 2 shown]
.LBB0_17:
	s_or_b64 exec, exec, s[10:11]
	v_add_f32_e32 v7, v26, v38
	v_pk_add_f32 v[34:35], v[34:35], v[20:21] neg_lo:[0,1] neg_hi:[0,1]
	v_fma_f32 v27, -0.5, v37, v26
	v_add_f32_e32 v21, v7, v31
	v_sub_f32_e32 v7, v38, v31
	v_fmamk_f32 v36, v34, 0xbf737871, v27
	v_fmac_f32_e32 v27, 0x3f737871, v34
	v_sub_f32_e32 v23, v29, v33
	s_mov_b32 s10, 0x3f167918
	v_fmac_f32_e32 v27, 0x3f167918, v35
	v_add_f32_e32 v7, v7, v23
	s_mov_b32 s11, 0x3f737871
	v_mul_f32_e32 v28, 0x3e9e377a, v7
	v_fmac_f32_e32 v27, 0x3e9e377a, v7
	v_add_f32_e32 v7, v38, v29
	v_mul_f32_e32 v20, 0x3f167918, v35
	v_fmac_f32_e32 v26, -0.5, v7
	v_pk_mul_f32 v[34:35], v[34:35], s[10:11]
	v_mov_b32_e32 v37, v33
	v_sub_f32_e32 v7, v26, v35
	v_pk_add_f32 v[40:41], v[32:33], v[20:21]
	v_pk_add_f32 v[20:21], v[36:37], v[20:21] neg_lo:[0,1] neg_hi:[0,1]
	v_add_f32_e32 v37, v34, v7
	v_sub_f32_e32 v7, v31, v38
	v_sub_f32_e32 v23, v33, v29
	v_mov_b32_e32 v21, v41
	v_add_f32_e32 v7, v7, v23
	v_pk_add_f32 v[20:21], v[20:21], v[28:29]
	v_mul_f32_e32 v28, 0x3e9e377a, v7
	v_add_f32_e32 v7, v35, v26
	v_sub_f32_e32 v36, v7, v34
	v_pk_add_f32 v[28:29], v[28:29], v[36:37] op_sel_hi:[0,1]
	s_waitcnt lgkmcnt(0)
	s_barrier
	ds_write2_b32 v16, v21, v27 offset1:16
	ds_write2_b32 v16, v29, v28 offset0:32 offset1:48
	ds_write_b32 v16, v20 offset:256
	s_waitcnt lgkmcnt(0)
	s_barrier
	s_and_saveexec_b64 s[10:11], s[2:3]
	s_xor_b64 s[2:3], exec, s[10:11]
	s_cbranch_execnz .LBB0_21
; %bb.18:
	s_andn2_saveexec_b64 s[2:3], s[2:3]
	s_cbranch_execnz .LBB0_22
.LBB0_19:
	s_or_b64 exec, exec, s[2:3]
	s_and_b64 s[0:1], vcc, s[0:1]
	s_and_saveexec_b64 s[2:3], s[0:1]
	s_cbranch_execnz .LBB0_23
.LBB0_20:
	s_endpgm
.LBB0_21:
                                        ; implicit-def: $vgpr1
	s_andn2_saveexec_b64 s[2:3], s[2:3]
	s_cbranch_execz .LBB0_19
.LBB0_22:
	v_add_u32_e32 v7, 0x400, v1
	ds_read2_b32 v[26:27], v1 offset1:80
	ds_read2_b32 v[30:31], v1 offset0:160 offset1:240
	ds_read2_b32 v[16:17], v7 offset0:64 offset1:144
	v_add_u32_e32 v7, 0x600, v1
	v_add_u32_e32 v1, 0x800, v1
	ds_read2_b32 v[14:15], v7 offset0:96 offset1:176
	ds_read2_b32 v[12:13], v1 offset0:128 offset1:208
	s_waitcnt lgkmcnt(2)
	v_mov_b32_e32 v20, v16
	v_mov_b32_e32 v21, v26
	;; [unrolled: 1-line block ×4, first 2 shown]
	s_or_b64 exec, exec, s[2:3]
	s_and_b64 s[0:1], vcc, s[0:1]
	s_and_saveexec_b64 s[2:3], s[0:1]
	s_cbranch_execz .LBB0_20
.LBB0_23:
	v_mul_u32_u24_e32 v1, 9, v0
	v_lshlrev_b32_e32 v1, 3, v1
	global_load_dwordx4 v[30:33], v1, s[8:9] offset:512
	global_load_dwordx4 v[34:37], v1, s[8:9] offset:528
	;; [unrolled: 1-line block ×4, first 2 shown]
	global_load_dwordx2 v[46:47], v1, s[8:9] offset:576
	v_mov_b32_e32 v16, v17
	v_mul_lo_u32 v7, s5, v4
	v_mul_lo_u32 v23, s4, v5
	v_mad_u64_u32 v[4:5], s[0:1], s4, v4, 0
	v_add3_u32 v5, v5, v23, v7
	v_mov_b32_e32 v26, v27
	s_mov_b32 s0, 0x3e9e377a
	s_mov_b32 s1, 0x3f167918
	v_lshl_add_u64 v[4:5], v[4:5], 3, s[6:7]
	v_mov_b32_e32 v1, 0
	v_lshl_add_u64 v[2:3], v[2:3], 3, v[4:5]
	v_lshl_add_u64 v[4:5], v[0:1], 3, v[2:3]
	s_mov_b32 s2, 0x3f737871
	s_mov_b32 s4, s1
	;; [unrolled: 1-line block ×6, first 2 shown]
	v_or_b32_e32 v0, 0x280, v0
	v_lshl_add_u64 v[0:1], v[0:1], 3, v[2:3]
	s_waitcnt vmcnt(4)
	v_pk_mul_f32 v[48:49], v[28:29], v[32:33] op_sel:[1,0]
	s_waitcnt vmcnt(3)
	v_pk_mul_f32 v[50:51], v[20:21], v[36:37] op_sel_hi:[0,1]
	s_waitcnt vmcnt(2) lgkmcnt(0)
	v_pk_mul_f32 v[52:53], v[12:13], v[40:41] op_sel_hi:[0,1]
	s_waitcnt vmcnt(1)
	v_pk_mul_f32 v[54:55], v[14:15], v[44:45] op_sel_hi:[0,1]
	v_pk_mul_f32 v[28:29], v[28:29], v[34:35] op_sel_hi:[0,1]
	;; [unrolled: 1-line block ×3, first 2 shown]
	s_waitcnt vmcnt(0)
	v_pk_mul_f32 v[12:13], v[12:13], v[46:47] op_sel:[1,0]
	v_pk_mul_f32 v[14:15], v[14:15], v[38:39] op_sel:[1,0]
	v_pk_fma_f32 v[56:57], v[24:25], v[32:33], v[48:49] op_sel:[0,0,1] op_sel_hi:[1,1,0]
	v_pk_fma_f32 v[32:33], v[24:25], v[32:33], v[48:49] op_sel:[0,0,1] op_sel_hi:[0,1,0] neg_lo:[1,0,0] neg_hi:[1,0,0]
	v_pk_fma_f32 v[48:49], v[22:23], v[36:37], v[50:51] op_sel:[0,0,1] op_sel_hi:[1,1,0]
	v_pk_fma_f32 v[22:23], v[22:23], v[36:37], v[50:51] op_sel:[0,0,1] op_sel_hi:[0,1,0] neg_lo:[1,0,0] neg_hi:[1,0,0]
	;; [unrolled: 2-line block ×8, first 2 shown]
	v_mov_b32_e32 v8, v25
	v_mov_b32_e32 v10, v17
	;; [unrolled: 1-line block ×3, first 2 shown]
	v_pk_add_f32 v[34:35], v[8:9], v[10:11] neg_lo:[0,1] neg_hi:[0,1]
	v_pk_mul_f32 v[26:27], v[26:27], v[30:31] op_sel_hi:[0,1]
	v_mov_b32_e32 v49, v23
	v_mov_b32_e32 v37, v7
	v_mov_b32_e32 v45, v17
	v_mov_b32_e32 v13, v11
	v_mov_b32_e32 v6, v40
	v_mov_b32_e32 v7, v42
	v_mov_b32_e32 v22, v44
	v_mov_b32_e32 v23, v12
	v_mov_b32_e32 v20, v35
	v_pk_fma_f32 v[14:15], v[18:19], v[30:31], v[26:27] op_sel:[0,0,1] op_sel_hi:[0,1,0]
	v_pk_fma_f32 v[26:27], v[18:19], v[30:31], v[26:27] op_sel:[0,0,1] op_sel_hi:[0,1,0] neg_lo:[1,0,0] neg_hi:[1,0,0]
	v_mov_b32_e32 v57, v33
	v_mov_b32_e32 v41, v25
	;; [unrolled: 1-line block ×3, first 2 shown]
	v_pk_add_f32 v[16:17], v[6:7], v[22:23] neg_lo:[0,1] neg_hi:[0,1]
	v_pk_add_f32 v[24:25], v[44:45], v[12:13]
	v_pk_add_f32 v[32:33], v[44:45], v[12:13] neg_lo:[0,1] neg_hi:[0,1]
	v_pk_add_f32 v[6:7], v[22:23], v[6:7] neg_lo:[0,1] neg_hi:[0,1]
	v_pk_add_f32 v[34:35], v[34:35], v[20:21]
	v_pk_add_f32 v[30:31], v[40:41], v[42:43] neg_lo:[0,1] neg_hi:[0,1]
	v_fma_f32 v39, -0.5, v24, v14
	v_fma_f32 v46, -0.5, v25, v27
	v_mov_b32_e32 v24, v7
	v_mov_b32_e32 v35, v32
	;; [unrolled: 1-line block ×3, first 2 shown]
	v_pk_add_f32 v[22:23], v[40:41], v[42:43]
	v_fmamk_f32 v20, v30, 0xbf737871, v46
	v_pk_add_f32 v[6:7], v[6:7], v[24:25]
	v_pk_mul_f32 v[24:25], v[34:35], s[0:1]
	v_fmac_f32_e32 v38, -0.5, v22
	v_mov_b32_e32 v7, v31
	v_sub_f32_e32 v20, v20, v25
	v_pk_mul_f32 v[6:7], v[6:7], s[0:1]
	v_add_f32_e32 v22, v24, v20
	v_fmamk_f32 v20, v33, 0xbf737871, v38
	v_pk_add_f32 v[8:9], v[10:11], v[8:9] neg_lo:[0,1] neg_hi:[0,1]
	v_add_f32_e32 v20, v7, v20
	v_mov_b32_e32 v10, v9
	v_mov_b32_e32 v15, v27
	;; [unrolled: 1-line block ×3, first 2 shown]
	v_add_f32_e32 v26, v6, v20
	v_pk_add_f32 v[8:9], v[8:9], v[10:11]
	v_mov_b32_e32 v20, v19
	v_pk_add_f32 v[16:17], v[16:17], v[18:19]
	v_fmamk_f32 v18, v31, 0x3f737871, v39
	v_mov_b32_e32 v9, v30
	v_fmac_f32_e32 v39, 0xbf737871, v31
	v_fmac_f32_e32 v46, 0x3f737871, v30
	v_pk_add_f32 v[30:31], v[20:21], v[56:57]
	v_pk_add_f32 v[14:15], v[40:41], v[14:15]
	;; [unrolled: 1-line block ×4, first 2 shown]
	v_fmac_f32_e32 v27, -0.5, v23
	v_fmac_f32_e32 v38, 0x3f737871, v33
	v_pk_add_f32 v[30:31], v[30:31], v[28:29]
	v_pk_add_f32 v[12:13], v[12:13], v[14:15]
	v_mov_b32_e32 v17, v33
	v_fmamk_f32 v10, v32, 0x3f737871, v27
	v_pk_mul_f32 v[8:9], v[8:9], s[0:1]
	v_sub_f32_e32 v7, v38, v7
	v_fmac_f32_e32 v27, 0xbf737871, v32
	v_pk_add_f32 v[30:31], v[36:37], v[30:31]
	v_pk_add_f32 v[12:13], v[42:43], v[12:13]
	v_pk_mul_f32 v[16:17], v[16:17], s[0:1]
	v_sub_f32_e32 v10, v10, v9
	v_add_f32_e32 v6, v6, v7
	v_add_f32_e32 v7, v9, v27
	v_pk_add_f32 v[14:15], v[30:31], v[12:13]
	v_add_f32_e32 v18, v17, v18
	v_add_f32_e32 v10, v8, v10
	;; [unrolled: 1-line block ×3, first 2 shown]
	v_sub_f32_e32 v7, v39, v17
	global_store_dwordx2 v[4:5], v[14:15], off
	v_pk_add_f32 v[14:15], v[48:49], v[28:29]
	v_pk_add_f32 v[32:33], v[56:57], v[36:37] neg_lo:[0,1] neg_hi:[0,1]
	v_add_f32_e32 v18, v16, v18
	v_add_f32_e32 v16, v16, v7
	v_add_f32_e32 v7, v25, v46
	v_pk_fma_f32 v[14:15], v[14:15], 0.5, v[20:21] op_sel_hi:[1,0,1] neg_lo:[1,0,0] neg_hi:[1,0,0]
	v_pk_mul_f32 v[34:35], v[32:33], s[2:3] op_sel_hi:[1,0]
	v_pk_add_f32 v[38:39], v[48:49], v[28:29] neg_lo:[0,1] neg_hi:[0,1]
	v_pk_add_f32 v[42:43], v[56:57], v[48:49] neg_lo:[0,1] neg_hi:[0,1]
	;; [unrolled: 1-line block ×3, first 2 shown]
	v_add_f32_e32 v24, v24, v7
	v_pk_mul_f32 v[40:41], v[38:39], s[4:5] op_sel_hi:[1,0]
	v_pk_add_f32 v[42:43], v[42:43], v[44:45]
	v_pk_add_f32 v[44:45], v[14:15], v[34:35] op_sel:[0,1] op_sel_hi:[1,0] neg_lo:[0,1] neg_hi:[0,1]
	v_pk_add_f32 v[14:15], v[14:15], v[34:35] op_sel:[0,1] op_sel_hi:[1,0]
	v_pk_add_f32 v[34:35], v[44:45], v[40:41] op_sel:[0,1] op_sel_hi:[1,0] neg_lo:[0,1] neg_hi:[0,1]
	v_pk_add_f32 v[14:15], v[14:15], v[40:41] op_sel:[0,1] op_sel_hi:[1,0]
	v_pk_mul_f32 v[24:25], v[24:25], s[8:9] op_sel_hi:[0,1]
	v_mov_b32_e32 v40, v34
	v_mov_b32_e32 v41, v15
	v_pk_fma_f32 v[44:45], v[16:17], s[6:7], v[24:25] neg_lo:[0,0,1] neg_hi:[0,0,1]
	v_pk_fma_f32 v[16:17], v[16:17], s[6:7], v[24:25] op_sel_hi:[0,1,1]
	v_pk_fma_f32 v[40:41], v[42:43], s[0:1], v[40:41] op_sel_hi:[1,0,1]
	v_mov_b32_e32 v45, v17
	v_pk_add_f32 v[16:17], v[40:41], v[44:45]
	global_store_dwordx2 v[4:5], v[16:17], off offset:640
	v_pk_add_f32 v[16:17], v[48:49], v[56:57] neg_lo:[0,1] neg_hi:[0,1]
	v_pk_add_f32 v[24:25], v[28:29], v[36:37] neg_lo:[0,1] neg_hi:[0,1]
	s_mov_b32 s3, s0
	v_pk_add_f32 v[16:17], v[16:17], v[24:25]
	v_pk_add_f32 v[24:25], v[56:57], v[36:37]
	s_mov_b32 s6, s0
	s_mov_b32 s7, s2
	v_pk_mul_f32 v[8:9], v[8:9], s[2:3] op_sel_hi:[0,1]
	v_pk_fma_f32 v[20:21], v[24:25], 0.5, v[20:21] op_sel_hi:[1,0,1] neg_lo:[1,0,0] neg_hi:[1,0,0]
	v_pk_fma_f32 v[24:25], v[6:7], s[6:7], v[8:9] neg_lo:[0,0,1] neg_hi:[0,0,1]
	v_pk_fma_f32 v[6:7], v[6:7], s[6:7], v[8:9] op_sel_hi:[0,1,1]
	v_mov_b32_e32 v25, v7
	v_pk_mul_f32 v[6:7], v[38:39], s[2:3] op_sel_hi:[1,0]
	v_pk_mul_f32 v[8:9], v[32:33], s[4:5] op_sel_hi:[1,0]
	v_pk_add_f32 v[28:29], v[20:21], v[6:7] op_sel:[0,1] op_sel_hi:[1,0]
	v_pk_add_f32 v[6:7], v[20:21], v[6:7] op_sel:[0,1] op_sel_hi:[1,0] neg_lo:[0,1] neg_hi:[0,1]
	s_mov_b32 s4, 0xbe9e377a
	v_pk_add_f32 v[6:7], v[6:7], v[8:9] op_sel:[0,1] op_sel_hi:[1,0]
	v_pk_add_f32 v[8:9], v[28:29], v[8:9] op_sel:[0,1] op_sel_hi:[1,0] neg_lo:[0,1] neg_hi:[0,1]
	v_mov_b32_e32 v21, v7
	s_mov_b32 s5, s2
	v_pk_mul_f32 v[10:11], v[10:11], s[2:3] op_sel_hi:[0,1]
	v_mov_b32_e32 v7, v9
	v_pk_fma_f32 v[10:11], v[26:27], s[4:5], v[10:11] op_sel_hi:[0,1,1] neg_lo:[0,0,1] neg_hi:[0,0,1]
	v_pk_fma_f32 v[6:7], v[16:17], s[0:1], v[6:7] op_sel_hi:[1,0,1]
	v_mov_b32_e32 v20, v8
	v_pk_add_f32 v[8:9], v[6:7], v[10:11]
	global_store_dwordx2 v[4:5], v[8:9], off offset:1920
	s_mov_b32 s2, 0xbf4f1bbd
	s_mov_b32 s3, s1
	v_pk_mul_f32 v[8:9], v[22:23], s[8:9] op_sel_hi:[0,1]
	v_mov_b32_e32 v15, v35
	v_pk_fma_f32 v[20:21], v[16:17], s[0:1], v[20:21] op_sel_hi:[1,0,1]
	v_pk_fma_f32 v[8:9], v[18:19], s[2:3], v[8:9] op_sel_hi:[0,1,1] neg_lo:[0,0,1] neg_hi:[0,0,1]
	v_pk_fma_f32 v[14:15], v[42:43], s[0:1], v[14:15] op_sel_hi:[1,0,1]
	v_pk_add_f32 v[12:13], v[30:31], v[12:13] neg_lo:[0,1] neg_hi:[0,1]
	v_pk_add_f32 v[28:29], v[20:21], v[24:25]
	v_pk_add_f32 v[16:17], v[14:15], v[8:9]
	global_store_dwordx2 v[4:5], v[12:13], off offset:3200
	v_pk_add_f32 v[12:13], v[40:41], v[44:45] neg_lo:[0,1] neg_hi:[0,1]
	global_store_dwordx2 v[4:5], v[28:29], off offset:1280
	global_store_dwordx2 v[4:5], v[16:17], off offset:2560
	;; [unrolled: 1-line block ×3, first 2 shown]
	v_add_co_u32_e32 v4, vcc, 0x1000, v4
	v_pk_add_f32 v[2:3], v[6:7], v[10:11] neg_lo:[0,1] neg_hi:[0,1]
	v_pk_add_f32 v[12:13], v[20:21], v[24:25] neg_lo:[0,1] neg_hi:[0,1]
	v_addc_co_u32_e32 v5, vcc, 0, v5, vcc
	global_store_dwordx2 v[0:1], v[2:3], off
	v_pk_add_f32 v[0:1], v[14:15], v[8:9] neg_lo:[0,1] neg_hi:[0,1]
	global_store_dwordx2 v[4:5], v[12:13], off offset:384
	global_store_dwordx2 v[4:5], v[0:1], off offset:1664
	s_endpgm
	.section	.rodata,"a",@progbits
	.p2align	6, 0x0
	.amdhsa_kernel fft_rtc_back_len800_factors_16_5_10_wgs_160_tpt_160_halfLds_sp_op_CI_CI_unitstride_sbrr_dirReg
		.amdhsa_group_segment_fixed_size 0
		.amdhsa_private_segment_fixed_size 0
		.amdhsa_kernarg_size 104
		.amdhsa_user_sgpr_count 2
		.amdhsa_user_sgpr_dispatch_ptr 0
		.amdhsa_user_sgpr_queue_ptr 0
		.amdhsa_user_sgpr_kernarg_segment_ptr 1
		.amdhsa_user_sgpr_dispatch_id 0
		.amdhsa_user_sgpr_kernarg_preload_length 0
		.amdhsa_user_sgpr_kernarg_preload_offset 0
		.amdhsa_user_sgpr_private_segment_size 0
		.amdhsa_uses_dynamic_stack 0
		.amdhsa_enable_private_segment 0
		.amdhsa_system_sgpr_workgroup_id_x 1
		.amdhsa_system_sgpr_workgroup_id_y 0
		.amdhsa_system_sgpr_workgroup_id_z 0
		.amdhsa_system_sgpr_workgroup_info 0
		.amdhsa_system_vgpr_workitem_id 0
		.amdhsa_next_free_vgpr 70
		.amdhsa_next_free_sgpr 28
		.amdhsa_accum_offset 72
		.amdhsa_reserve_vcc 1
		.amdhsa_float_round_mode_32 0
		.amdhsa_float_round_mode_16_64 0
		.amdhsa_float_denorm_mode_32 3
		.amdhsa_float_denorm_mode_16_64 3
		.amdhsa_dx10_clamp 1
		.amdhsa_ieee_mode 1
		.amdhsa_fp16_overflow 0
		.amdhsa_tg_split 0
		.amdhsa_exception_fp_ieee_invalid_op 0
		.amdhsa_exception_fp_denorm_src 0
		.amdhsa_exception_fp_ieee_div_zero 0
		.amdhsa_exception_fp_ieee_overflow 0
		.amdhsa_exception_fp_ieee_underflow 0
		.amdhsa_exception_fp_ieee_inexact 0
		.amdhsa_exception_int_div_zero 0
	.end_amdhsa_kernel
	.text
.Lfunc_end0:
	.size	fft_rtc_back_len800_factors_16_5_10_wgs_160_tpt_160_halfLds_sp_op_CI_CI_unitstride_sbrr_dirReg, .Lfunc_end0-fft_rtc_back_len800_factors_16_5_10_wgs_160_tpt_160_halfLds_sp_op_CI_CI_unitstride_sbrr_dirReg
                                        ; -- End function
	.section	.AMDGPU.csdata,"",@progbits
; Kernel info:
; codeLenInByte = 5468
; NumSgprs: 34
; NumVgprs: 70
; NumAgprs: 0
; TotalNumVgprs: 70
; ScratchSize: 0
; MemoryBound: 0
; FloatMode: 240
; IeeeMode: 1
; LDSByteSize: 0 bytes/workgroup (compile time only)
; SGPRBlocks: 4
; VGPRBlocks: 8
; NumSGPRsForWavesPerEU: 34
; NumVGPRsForWavesPerEU: 70
; AccumOffset: 72
; Occupancy: 7
; WaveLimiterHint : 1
; COMPUTE_PGM_RSRC2:SCRATCH_EN: 0
; COMPUTE_PGM_RSRC2:USER_SGPR: 2
; COMPUTE_PGM_RSRC2:TRAP_HANDLER: 0
; COMPUTE_PGM_RSRC2:TGID_X_EN: 1
; COMPUTE_PGM_RSRC2:TGID_Y_EN: 0
; COMPUTE_PGM_RSRC2:TGID_Z_EN: 0
; COMPUTE_PGM_RSRC2:TIDIG_COMP_CNT: 0
; COMPUTE_PGM_RSRC3_GFX90A:ACCUM_OFFSET: 17
; COMPUTE_PGM_RSRC3_GFX90A:TG_SPLIT: 0
	.text
	.p2alignl 6, 3212836864
	.fill 256, 4, 3212836864
	.type	__hip_cuid_311deba5d414c139,@object ; @__hip_cuid_311deba5d414c139
	.section	.bss,"aw",@nobits
	.globl	__hip_cuid_311deba5d414c139
__hip_cuid_311deba5d414c139:
	.byte	0                               ; 0x0
	.size	__hip_cuid_311deba5d414c139, 1

	.ident	"AMD clang version 19.0.0git (https://github.com/RadeonOpenCompute/llvm-project roc-6.4.0 25133 c7fe45cf4b819c5991fe208aaa96edf142730f1d)"
	.section	".note.GNU-stack","",@progbits
	.addrsig
	.addrsig_sym __hip_cuid_311deba5d414c139
	.amdgpu_metadata
---
amdhsa.kernels:
  - .agpr_count:     0
    .args:
      - .actual_access:  read_only
        .address_space:  global
        .offset:         0
        .size:           8
        .value_kind:     global_buffer
      - .offset:         8
        .size:           8
        .value_kind:     by_value
      - .actual_access:  read_only
        .address_space:  global
        .offset:         16
        .size:           8
        .value_kind:     global_buffer
      - .actual_access:  read_only
        .address_space:  global
        .offset:         24
        .size:           8
        .value_kind:     global_buffer
      - .actual_access:  read_only
        .address_space:  global
        .offset:         32
        .size:           8
        .value_kind:     global_buffer
      - .offset:         40
        .size:           8
        .value_kind:     by_value
      - .actual_access:  read_only
        .address_space:  global
        .offset:         48
        .size:           8
        .value_kind:     global_buffer
      - .actual_access:  read_only
        .address_space:  global
        .offset:         56
        .size:           8
        .value_kind:     global_buffer
      - .offset:         64
        .size:           4
        .value_kind:     by_value
      - .actual_access:  read_only
        .address_space:  global
        .offset:         72
        .size:           8
        .value_kind:     global_buffer
      - .actual_access:  read_only
        .address_space:  global
        .offset:         80
        .size:           8
        .value_kind:     global_buffer
      - .actual_access:  read_only
        .address_space:  global
        .offset:         88
        .size:           8
        .value_kind:     global_buffer
      - .actual_access:  write_only
        .address_space:  global
        .offset:         96
        .size:           8
        .value_kind:     global_buffer
    .group_segment_fixed_size: 0
    .kernarg_segment_align: 8
    .kernarg_segment_size: 104
    .language:       OpenCL C
    .language_version:
      - 2
      - 0
    .max_flat_workgroup_size: 160
    .name:           fft_rtc_back_len800_factors_16_5_10_wgs_160_tpt_160_halfLds_sp_op_CI_CI_unitstride_sbrr_dirReg
    .private_segment_fixed_size: 0
    .sgpr_count:     34
    .sgpr_spill_count: 0
    .symbol:         fft_rtc_back_len800_factors_16_5_10_wgs_160_tpt_160_halfLds_sp_op_CI_CI_unitstride_sbrr_dirReg.kd
    .uniform_work_group_size: 1
    .uses_dynamic_stack: false
    .vgpr_count:     70
    .vgpr_spill_count: 0
    .wavefront_size: 64
amdhsa.target:   amdgcn-amd-amdhsa--gfx950
amdhsa.version:
  - 1
  - 2
...

	.end_amdgpu_metadata
